;; amdgpu-corpus repo=ROCm/rocFFT kind=compiled arch=gfx906 opt=O3
	.text
	.amdgcn_target "amdgcn-amd-amdhsa--gfx906"
	.amdhsa_code_object_version 6
	.protected	fft_rtc_back_len64_factors_4_4_4_wgs_128_tpt_16_sp_op_CI_CI_sbrc_aligned ; -- Begin function fft_rtc_back_len64_factors_4_4_4_wgs_128_tpt_16_sp_op_CI_CI_sbrc_aligned
	.globl	fft_rtc_back_len64_factors_4_4_4_wgs_128_tpt_16_sp_op_CI_CI_sbrc_aligned
	.p2align	8
	.type	fft_rtc_back_len64_factors_4_4_4_wgs_128_tpt_16_sp_op_CI_CI_sbrc_aligned,@function
fft_rtc_back_len64_factors_4_4_4_wgs_128_tpt_16_sp_op_CI_CI_sbrc_aligned: ; @fft_rtc_back_len64_factors_4_4_4_wgs_128_tpt_16_sp_op_CI_CI_sbrc_aligned
; %bb.0:
	s_load_dwordx8 s[8:15], s[4:5], 0x0
	s_mov_b32 s34, 0
	s_mov_b32 s30, 3
	s_mov_b64 s[36:37], 2
	s_waitcnt lgkmcnt(0)
	s_load_dword s0, s[12:13], 0x8
	s_load_dwordx4 s[20:23], s[4:5], 0x58
	s_load_dwordx2 s[28:29], s[4:5], 0x20
	s_load_dwordx4 s[24:27], s[14:15], 0x0
	s_mov_b32 s5, s34
	s_waitcnt lgkmcnt(0)
	s_add_i32 s0, s0, -1
	s_lshr_b32 s0, s0, 3
	s_add_i32 s33, s0, 1
	v_cvt_f32_u32_e32 v1, s33
	s_sub_i32 s2, 0, s33
	s_load_dwordx4 s[16:19], s[28:29], 0x0
	v_cmp_gt_u64_e64 s[0:1], s[10:11], 2
	v_rcp_iflag_f32_e32 v1, v1
	v_mul_f32_e32 v1, 0x4f7ffffe, v1
	v_cvt_u32_f32_e32 v1, v1
	v_readfirstlane_b32 s3, v1
	s_mul_i32 s2, s2, s3
	s_mul_hi_u32 s2, s3, s2
	s_add_i32 s3, s3, s2
	s_mul_hi_u32 s2, s6, s3
	s_mul_i32 s3, s2, s33
	s_sub_i32 s3, s6, s3
	s_add_i32 s4, s2, 1
	s_sub_i32 s7, s3, s33
	s_cmp_ge_u32 s3, s33
	s_cselect_b32 s2, s4, s2
	s_cselect_b32 s3, s7, s3
	s_add_i32 s4, s2, 1
	s_cmp_ge_u32 s3, s33
	s_cselect_b32 s7, s4, s2
	s_mul_i32 s2, s7, s33
	s_sub_i32 s2, s6, s2
	s_lshl_b32 s2, s2, 3
	s_waitcnt lgkmcnt(0)
	s_mul_i32 s3, s17, s2
	s_mul_hi_u32 s19, s16, s2
	s_mul_i32 s4, s2, s26
	s_mul_i32 s2, s16, s2
	s_add_i32 s3, s19, s3
	s_and_b64 vcc, exec, s[0:1]
	s_cbranch_vccz .LBB0_9
; %bb.1:
	v_mov_b32_e32 v1, s10
	v_mov_b32_e32 v2, s11
.LBB0_2:                                ; =>This Inner Loop Header: Depth=1
	s_lshl_b64 s[36:37], s[36:37], 3
	s_add_u32 s0, s12, s36
	s_addc_u32 s1, s13, s37
	s_load_dwordx2 s[38:39], s[0:1], 0x0
	s_waitcnt lgkmcnt(0)
	s_mov_b32 s35, s39
	s_cmp_lg_u64 s[34:35], 0
	s_cbranch_scc0 .LBB0_7
; %bb.3:                                ;   in Loop: Header=BB0_2 Depth=1
	v_cvt_f32_u32_e32 v3, s38
	v_cvt_f32_u32_e32 v4, s39
	s_sub_u32 s0, 0, s38
	s_subb_u32 s1, 0, s39
	v_mac_f32_e32 v3, 0x4f800000, v4
	v_rcp_f32_e32 v3, v3
	v_mul_f32_e32 v3, 0x5f7ffffc, v3
	v_mul_f32_e32 v4, 0x2f800000, v3
	v_trunc_f32_e32 v4, v4
	v_mac_f32_e32 v3, 0xcf800000, v4
	v_cvt_u32_f32_e32 v4, v4
	v_cvt_u32_f32_e32 v3, v3
	v_readfirstlane_b32 s19, v4
	v_readfirstlane_b32 s27, v3
	s_mul_i32 s31, s0, s19
	s_mul_hi_u32 s40, s0, s27
	s_mul_i32 s35, s1, s27
	s_add_i32 s31, s40, s31
	s_mul_i32 s41, s0, s27
	s_add_i32 s31, s31, s35
	s_mul_hi_u32 s35, s27, s31
	s_mul_i32 s40, s27, s31
	s_mul_hi_u32 s27, s27, s41
	s_add_u32 s27, s27, s40
	s_addc_u32 s35, 0, s35
	s_mul_hi_u32 s42, s19, s41
	s_mul_i32 s41, s19, s41
	s_add_u32 s27, s27, s41
	s_mul_hi_u32 s40, s19, s31
	s_addc_u32 s27, s35, s42
	s_addc_u32 s35, s40, 0
	s_mul_i32 s31, s19, s31
	s_add_u32 s27, s27, s31
	s_addc_u32 s31, 0, s35
	v_add_co_u32_e32 v3, vcc, s27, v3
	s_cmp_lg_u64 vcc, 0
	s_addc_u32 s19, s19, s31
	v_readfirstlane_b32 s31, v3
	s_mul_i32 s27, s0, s19
	s_mul_hi_u32 s35, s0, s31
	s_add_i32 s27, s35, s27
	s_mul_i32 s1, s1, s31
	s_add_i32 s27, s27, s1
	s_mul_i32 s0, s0, s31
	s_mul_hi_u32 s35, s19, s0
	s_mul_i32 s40, s19, s0
	s_mul_i32 s42, s31, s27
	s_mul_hi_u32 s0, s31, s0
	s_mul_hi_u32 s41, s31, s27
	s_add_u32 s0, s0, s42
	s_addc_u32 s31, 0, s41
	s_add_u32 s0, s0, s40
	s_mul_hi_u32 s1, s19, s27
	s_addc_u32 s0, s31, s35
	s_addc_u32 s1, s1, 0
	s_mul_i32 s27, s19, s27
	s_add_u32 s0, s0, s27
	s_addc_u32 s1, 0, s1
	v_add_co_u32_e32 v3, vcc, s0, v3
	s_cmp_lg_u64 vcc, 0
	s_addc_u32 s0, s19, s1
	v_readfirstlane_b32 s19, v3
	s_mul_hi_u32 s1, s7, s0
	s_mul_i32 s0, s7, s0
	s_mul_hi_u32 s19, s7, s19
	s_add_u32 s0, s19, s0
	s_addc_u32 s19, 0, s1
	s_mul_i32 s0, s39, s19
	s_mul_hi_u32 s1, s38, s19
	s_add_i32 s27, s1, s0
	s_mul_i32 s1, s38, s19
	v_mov_b32_e32 v3, s1
	s_sub_i32 s0, 0, s27
	v_sub_co_u32_e32 v3, vcc, s7, v3
	s_cmp_lg_u64 vcc, 0
	s_subb_u32 s31, s0, s39
	v_subrev_co_u32_e64 v4, s[0:1], s38, v3
	s_cmp_lg_u64 s[0:1], 0
	s_subb_u32 s0, s31, 0
	s_cmp_ge_u32 s0, s39
	v_readfirstlane_b32 s31, v4
	s_cselect_b32 s1, -1, 0
	s_cmp_ge_u32 s31, s38
	s_cselect_b32 s31, -1, 0
	s_cmp_eq_u32 s0, s39
	s_cselect_b32 s0, s31, s1
	s_add_u32 s1, s19, 1
	s_addc_u32 s31, 0, 0
	s_add_u32 s35, s19, 2
	s_addc_u32 s40, 0, 0
	s_cmp_lg_u32 s0, 0
	s_cselect_b32 s0, s35, s1
	s_cselect_b32 s1, s40, s31
	s_cmp_lg_u64 vcc, 0
	s_subb_u32 s27, 0, s27
	s_cmp_ge_u32 s27, s39
	v_readfirstlane_b32 s35, v3
	s_cselect_b32 s31, -1, 0
	s_cmp_ge_u32 s35, s38
	s_cselect_b32 s35, -1, 0
	s_cmp_eq_u32 s27, s39
	s_cselect_b32 s27, s35, s31
	s_cmp_lg_u32 s27, 0
	s_cselect_b32 s1, s1, 0
	s_cselect_b32 s0, s0, s19
	s_cbranch_execnz .LBB0_5
.LBB0_4:                                ;   in Loop: Header=BB0_2 Depth=1
	v_cvt_f32_u32_e32 v3, s38
	s_sub_i32 s0, 0, s38
	v_rcp_iflag_f32_e32 v3, v3
	v_mul_f32_e32 v3, 0x4f7ffffe, v3
	v_cvt_u32_f32_e32 v3, v3
	v_readfirstlane_b32 s1, v3
	s_mul_i32 s0, s0, s1
	s_mul_hi_u32 s0, s1, s0
	s_add_i32 s1, s1, s0
	s_mul_hi_u32 s0, s7, s1
	s_mul_i32 s19, s0, s38
	s_sub_i32 s19, s7, s19
	s_add_i32 s1, s0, 1
	s_sub_i32 s27, s19, s38
	s_cmp_ge_u32 s19, s38
	s_cselect_b32 s0, s1, s0
	s_cselect_b32 s19, s27, s19
	s_add_i32 s1, s0, 1
	s_cmp_ge_u32 s19, s38
	s_cselect_b32 s0, s1, s0
	s_mov_b32 s1, s34
.LBB0_5:                                ;   in Loop: Header=BB0_2 Depth=1
	s_mul_i32 s19, s0, s39
	s_mul_hi_u32 s27, s0, s38
	s_add_i32 s19, s27, s19
	s_mul_i32 s1, s1, s38
	s_add_i32 s19, s19, s1
	s_mul_i32 s1, s0, s38
	s_sub_u32 s1, s7, s1
	s_subb_u32 s7, 0, s19
	s_add_u32 s40, s14, s36
	s_addc_u32 s41, s15, s37
	s_load_dwordx2 s[40:41], s[40:41], 0x0
	s_mov_b32 s31, s34
	v_cmp_ge_u64_e32 vcc, s[30:31], v[1:2]
	s_mul_i32 s33, s33, s38
	s_waitcnt lgkmcnt(0)
	s_mul_i32 s19, s40, s7
	s_mul_hi_u32 s27, s40, s1
	s_add_i32 s19, s27, s19
	s_mul_i32 s27, s41, s1
	s_add_i32 s19, s19, s27
	s_mul_i32 s27, s40, s1
	s_add_u32 s4, s27, s4
	s_addc_u32 s5, s19, s5
	s_add_u32 s36, s28, s36
	s_addc_u32 s37, s29, s37
	s_load_dwordx2 s[36:37], s[36:37], 0x0
	s_waitcnt lgkmcnt(0)
	s_mul_i32 s7, s36, s7
	s_mul_hi_u32 s19, s36, s1
	s_add_i32 s7, s19, s7
	s_mul_i32 s19, s37, s1
	s_add_i32 s7, s7, s19
	s_mul_i32 s1, s36, s1
	s_add_u32 s2, s1, s2
	s_addc_u32 s3, s7, s3
	s_mov_b64 s[36:37], s[30:31]
	s_add_i32 s30, s30, 1
	s_cbranch_vccnz .LBB0_8
; %bb.6:                                ;   in Loop: Header=BB0_2 Depth=1
	s_mov_b32 s7, s0
	s_branch .LBB0_2
.LBB0_7:                                ;   in Loop: Header=BB0_2 Depth=1
                                        ; implicit-def: $sgpr0_sgpr1
	s_branch .LBB0_4
.LBB0_8:
	v_cvt_f32_u32_e32 v1, s33
	s_sub_i32 s0, 0, s33
	v_rcp_iflag_f32_e32 v1, v1
	v_mul_f32_e32 v1, 0x4f7ffffe, v1
	v_cvt_u32_f32_e32 v1, v1
	v_readfirstlane_b32 s1, v1
	s_mul_i32 s0, s0, s1
	s_mul_hi_u32 s0, s1, s0
	s_add_i32 s1, s1, s0
	s_mul_hi_u32 s0, s6, s1
	s_mul_i32 s1, s0, s33
	s_sub_i32 s1, s6, s1
	s_add_i32 s7, s0, 1
	s_sub_i32 s6, s1, s33
	s_cmp_ge_u32 s1, s33
	s_cselect_b32 s0, s7, s0
	s_cselect_b32 s1, s6, s1
	s_add_i32 s6, s0, 1
	s_cmp_ge_u32 s1, s33
	s_cselect_b32 s7, s6, s0
.LBB0_9:
	s_lshl_b64 s[0:1], s[10:11], 3
	s_add_u32 s10, s14, s0
	s_addc_u32 s11, s15, s1
	s_load_dwordx2 s[10:11], s[10:11], 0x0
	v_and_b32_e32 v19, 63, v0
	v_mad_u64_u32 v[1:2], s[12:13], s24, v19, 0
	v_lshrrev_b32_e32 v20, 6, v0
	s_waitcnt lgkmcnt(0)
	s_mul_i32 s6, s11, s7
	s_mul_hi_u32 s11, s10, s7
	s_add_i32 s11, s11, s6
	s_add_u32 s0, s28, s0
	s_addc_u32 s1, s29, s1
	s_load_dwordx2 s[0:1], s[0:1], 0x0
	v_mad_u64_u32 v[2:3], s[12:13], s25, v19, v[2:3]
	s_mul_i32 s10, s10, s7
	s_lshl_b64 s[10:11], s[10:11], 3
	s_waitcnt lgkmcnt(0)
	s_mul_i32 s1, s1, s7
	s_mul_hi_u32 s6, s0, s7
	s_add_i32 s1, s6, s1
	s_add_u32 s6, s20, s10
	v_mul_lo_u32 v9, v20, s26
	s_addc_u32 s10, s21, s11
	s_lshl_b64 s[4:5], s[4:5], 3
	s_add_u32 s4, s6, s4
	v_lshlrev_b64 v[1:2], 3, v[1:2]
	s_addc_u32 s5, s10, s5
	v_mov_b32_e32 v10, 0
	v_mov_b32_e32 v3, s5
	v_add_co_u32_e32 v11, vcc, s4, v1
	v_addc_co_u32_e32 v12, vcc, v3, v2, vcc
	v_lshlrev_b64 v[1:2], 3, v[9:10]
	s_lshl_b32 s4, s26, 1
	v_add_u32_e32 v9, s4, v9
	v_add_co_u32_e32 v1, vcc, v11, v1
	v_lshlrev_b64 v[3:4], 3, v[9:10]
	v_addc_co_u32_e32 v2, vcc, v12, v2, vcc
	v_add_u32_e32 v9, s4, v9
	v_add_co_u32_e32 v3, vcc, v11, v3
	v_lshlrev_b64 v[5:6], 3, v[9:10]
	v_addc_co_u32_e32 v4, vcc, v12, v4, vcc
	;; [unrolled: 4-line block ×3, first 2 shown]
	v_add_co_u32_e32 v7, vcc, v11, v7
	v_addc_co_u32_e32 v8, vcc, v12, v8, vcc
	global_load_dwordx2 v[11:12], v[1:2], off
	global_load_dwordx2 v[13:14], v[3:4], off
	;; [unrolled: 1-line block ×4, first 2 shown]
	v_and_b32_e32 v9, 15, v0
	v_lshlrev_b32_e32 v2, 5, v0
	v_lshlrev_b32_e32 v3, 3, v19
	v_and_b32_e32 v21, 3, v0
	v_and_b32_e32 v2, 0xe00, v2
	v_lshlrev_b32_e32 v4, 3, v9
	v_lshl_or_b32 v3, v20, 9, v3
	v_lshl_add_u32 v1, v0, 3, 0
	v_mul_u32_u24_e32 v5, 3, v21
	v_add_u32_e32 v19, 0, v2
	v_add3_u32 v20, 0, v4, v2
	v_add_u32_e32 v2, 0, v3
	v_lshlrev_b32_e32 v22, 3, v5
	v_add_u32_e32 v23, v19, v4
	v_mad_u32_u24 v24, v9, 24, v20
	s_mul_i32 s0, s0, s7
	s_lshl_b64 s[0:1], s[0:1], 3
	s_waitcnt vmcnt(3)
	ds_write_b64 v1, v[11:12]
	s_waitcnt vmcnt(1)
	ds_write2st64_b64 v2, v[13:14], v[15:16] offset0:2 offset1:4
	s_waitcnt vmcnt(0)
	ds_write_b64 v2, v[17:18] offset:3072
	s_waitcnt lgkmcnt(0)
	s_barrier
	ds_read2_b64 v[1:4], v20 offset0:16 offset1:32
	ds_read_b64 v[5:6], v23
	ds_read_b64 v[7:8], v20 offset:384
	s_waitcnt lgkmcnt(0)
	s_barrier
	v_sub_f32_e32 v11, v5, v3
	v_sub_f32_e32 v12, v6, v4
	;; [unrolled: 1-line block ×4, first 2 shown]
	v_fma_f32 v7, v5, 2.0, -v11
	v_fma_f32 v8, v6, 2.0, -v12
	;; [unrolled: 1-line block ×4, first 2 shown]
	v_add_f32_e32 v1, v11, v4
	v_sub_f32_e32 v2, v12, v3
	v_sub_f32_e32 v3, v7, v5
	;; [unrolled: 1-line block ×3, first 2 shown]
	v_fma_f32 v5, v11, 2.0, -v1
	v_fma_f32 v6, v12, 2.0, -v2
	;; [unrolled: 1-line block ×4, first 2 shown]
	ds_write2_b64 v24, v[3:4], v[1:2] offset0:2 offset1:3
	ds_write2_b64 v24, v[7:8], v[5:6] offset1:1
	s_waitcnt lgkmcnt(0)
	s_barrier
	global_load_dwordx4 v[1:4], v22, s[8:9]
	global_load_dwordx2 v[11:12], v22, s[8:9] offset:16
	v_lshlrev_b32_e32 v5, 2, v0
	v_and_or_b32 v5, v5, 48, v21
	v_mul_u32_u24_e32 v6, 3, v9
	v_lshlrev_b32_e32 v9, 3, v6
	v_lshl_add_u32 v17, v5, 3, v19
	ds_read2_b64 v[5:8], v20 offset0:16 offset1:32
	ds_read_b64 v[13:14], v23
	ds_read_b64 v[15:16], v20 offset:384
	s_waitcnt vmcnt(0) lgkmcnt(0)
	s_barrier
	v_mul_f32_e32 v18, v2, v6
	v_mul_f32_e32 v2, v2, v5
	;; [unrolled: 1-line block ×6, first 2 shown]
	v_fmac_f32_e32 v18, v1, v5
	v_fma_f32 v1, v1, v6, -v2
	v_fmac_f32_e32 v19, v3, v7
	v_fma_f32 v2, v3, v8, -v4
	;; [unrolled: 2-line block ×3, first 2 shown]
	v_sub_f32_e32 v5, v13, v19
	v_sub_f32_e32 v6, v14, v2
	;; [unrolled: 1-line block ×4, first 2 shown]
	v_fma_f32 v7, v13, 2.0, -v5
	v_fma_f32 v8, v14, 2.0, -v6
	;; [unrolled: 1-line block ×4, first 2 shown]
	v_add_f32_e32 v1, v5, v3
	v_sub_f32_e32 v2, v6, v2
	v_sub_f32_e32 v3, v7, v4
	;; [unrolled: 1-line block ×3, first 2 shown]
	v_fma_f32 v5, v5, 2.0, -v1
	v_fma_f32 v6, v6, 2.0, -v2
	;; [unrolled: 1-line block ×4, first 2 shown]
	ds_write2_b64 v17, v[3:4], v[1:2] offset0:8 offset1:12
	ds_write2_b64 v17, v[7:8], v[5:6] offset1:4
	s_waitcnt lgkmcnt(0)
	s_barrier
	global_load_dwordx4 v[1:4], v9, s[8:9] offset:96
	global_load_dwordx2 v[11:12], v9, s[8:9] offset:112
	v_and_b32_e32 v8, 7, v0
	v_mad_u64_u32 v[5:6], s[4:5], s16, v8, 0
	v_lshrrev_b32_e32 v9, 3, v0
	v_mul_lo_u32 v9, v9, s18
	v_mad_u64_u32 v[6:7], s[4:5], s17, v8, v[6:7]
	s_add_u32 s4, s22, s0
	s_addc_u32 s5, s23, s1
	s_lshl_b64 s[0:1], s[2:3], 3
	v_lshlrev_b64 v[5:6], 3, v[5:6]
	s_add_u32 s0, s4, s0
	v_and_b32_e32 v0, 0x78, v0
	v_lshlrev_b32_e32 v7, 9, v8
	s_addc_u32 s1, s5, s1
	v_add3_u32 v19, 0, v7, v0
	v_mov_b32_e32 v0, s1
	v_add_co_u32_e32 v21, vcc, s0, v5
	v_addc_co_u32_e32 v22, vcc, v0, v6, vcc
	v_lshlrev_b64 v[5:6], 3, v[9:10]
	s_lshl_b32 s2, s18, 4
	v_add_co_u32_e32 v15, vcc, v21, v5
	v_addc_co_u32_e32 v16, vcc, v22, v6, vcc
	ds_read2_b64 v[5:8], v20 offset0:16 offset1:32
	v_add_u32_e32 v9, s2, v9
	v_lshlrev_b64 v[13:14], 3, v[9:10]
	v_add_u32_e32 v9, s2, v9
	v_lshlrev_b64 v[17:18], 3, v[9:10]
	v_add_co_u32_e32 v13, vcc, v21, v13
	v_add_u32_e32 v9, s2, v9
	v_addc_co_u32_e32 v14, vcc, v22, v14, vcc
	v_lshlrev_b64 v[9:10], 3, v[9:10]
	v_add_co_u32_e32 v17, vcc, v21, v17
	v_addc_co_u32_e32 v18, vcc, v22, v18, vcc
	s_waitcnt vmcnt(1) lgkmcnt(0)
	v_mul_f32_e32 v24, v2, v6
	v_mul_f32_e32 v0, v2, v5
	;; [unrolled: 1-line block ×4, first 2 shown]
	v_fmac_f32_e32 v24, v1, v5
	v_fma_f32 v4, v1, v6, -v0
	v_fmac_f32_e32 v25, v3, v7
	v_fma_f32 v5, v3, v8, -v2
	ds_read_b64 v[0:1], v23
	ds_read_b64 v[2:3], v20 offset:384
	s_waitcnt vmcnt(0) lgkmcnt(0)
	s_barrier
	v_sub_f32_e32 v5, v1, v5
	v_mul_f32_e32 v6, v12, v3
	v_mul_f32_e32 v7, v12, v2
	v_fmac_f32_e32 v6, v11, v2
	v_fma_f32 v2, v11, v3, -v7
	v_sub_f32_e32 v7, v0, v25
	v_sub_f32_e32 v3, v24, v6
	;; [unrolled: 1-line block ×3, first 2 shown]
	v_fma_f32 v6, v0, 2.0, -v7
	v_fma_f32 v8, v1, 2.0, -v5
	;; [unrolled: 1-line block ×4, first 2 shown]
	v_add_f32_e32 v0, v7, v2
	v_sub_f32_e32 v1, v5, v3
	v_sub_f32_e32 v2, v6, v11
	;; [unrolled: 1-line block ×3, first 2 shown]
	v_fma_f32 v4, v7, 2.0, -v0
	v_fma_f32 v5, v5, 2.0, -v1
	v_fma_f32 v6, v6, 2.0, -v2
	v_fma_f32 v7, v8, 2.0, -v3
	ds_write2_b64 v20, v[2:3], v[0:1] offset0:32 offset1:48
	ds_write2_b64 v20, v[6:7], v[4:5] offset1:16
	s_waitcnt lgkmcnt(0)
	s_barrier
	ds_read2_b64 v[0:3], v19 offset1:16
	ds_read2_b64 v[4:7], v19 offset0:32 offset1:48
	v_add_co_u32_e32 v8, vcc, v21, v9
	v_addc_co_u32_e32 v9, vcc, v22, v10, vcc
	s_waitcnt lgkmcnt(1)
	global_store_dwordx2 v[15:16], v[0:1], off
	global_store_dwordx2 v[13:14], v[2:3], off
	s_waitcnt lgkmcnt(0)
	global_store_dwordx2 v[17:18], v[4:5], off
	global_store_dwordx2 v[8:9], v[6:7], off
	s_endpgm
	.section	.rodata,"a",@progbits
	.p2align	6, 0x0
	.amdhsa_kernel fft_rtc_back_len64_factors_4_4_4_wgs_128_tpt_16_sp_op_CI_CI_sbrc_aligned
		.amdhsa_group_segment_fixed_size 0
		.amdhsa_private_segment_fixed_size 0
		.amdhsa_kernarg_size 104
		.amdhsa_user_sgpr_count 6
		.amdhsa_user_sgpr_private_segment_buffer 1
		.amdhsa_user_sgpr_dispatch_ptr 0
		.amdhsa_user_sgpr_queue_ptr 0
		.amdhsa_user_sgpr_kernarg_segment_ptr 1
		.amdhsa_user_sgpr_dispatch_id 0
		.amdhsa_user_sgpr_flat_scratch_init 0
		.amdhsa_user_sgpr_private_segment_size 0
		.amdhsa_uses_dynamic_stack 0
		.amdhsa_system_sgpr_private_segment_wavefront_offset 0
		.amdhsa_system_sgpr_workgroup_id_x 1
		.amdhsa_system_sgpr_workgroup_id_y 0
		.amdhsa_system_sgpr_workgroup_id_z 0
		.amdhsa_system_sgpr_workgroup_info 0
		.amdhsa_system_vgpr_workitem_id 0
		.amdhsa_next_free_vgpr 26
		.amdhsa_next_free_sgpr 43
		.amdhsa_reserve_vcc 1
		.amdhsa_reserve_flat_scratch 0
		.amdhsa_float_round_mode_32 0
		.amdhsa_float_round_mode_16_64 0
		.amdhsa_float_denorm_mode_32 3
		.amdhsa_float_denorm_mode_16_64 3
		.amdhsa_dx10_clamp 1
		.amdhsa_ieee_mode 1
		.amdhsa_fp16_overflow 0
		.amdhsa_exception_fp_ieee_invalid_op 0
		.amdhsa_exception_fp_denorm_src 0
		.amdhsa_exception_fp_ieee_div_zero 0
		.amdhsa_exception_fp_ieee_overflow 0
		.amdhsa_exception_fp_ieee_underflow 0
		.amdhsa_exception_fp_ieee_inexact 0
		.amdhsa_exception_int_div_zero 0
	.end_amdhsa_kernel
	.text
.Lfunc_end0:
	.size	fft_rtc_back_len64_factors_4_4_4_wgs_128_tpt_16_sp_op_CI_CI_sbrc_aligned, .Lfunc_end0-fft_rtc_back_len64_factors_4_4_4_wgs_128_tpt_16_sp_op_CI_CI_sbrc_aligned
                                        ; -- End function
	.section	.AMDGPU.csdata,"",@progbits
; Kernel info:
; codeLenInByte = 2320
; NumSgprs: 47
; NumVgprs: 26
; ScratchSize: 0
; MemoryBound: 0
; FloatMode: 240
; IeeeMode: 1
; LDSByteSize: 0 bytes/workgroup (compile time only)
; SGPRBlocks: 5
; VGPRBlocks: 6
; NumSGPRsForWavesPerEU: 47
; NumVGPRsForWavesPerEU: 26
; Occupancy: 8
; WaveLimiterHint : 1
; COMPUTE_PGM_RSRC2:SCRATCH_EN: 0
; COMPUTE_PGM_RSRC2:USER_SGPR: 6
; COMPUTE_PGM_RSRC2:TRAP_HANDLER: 0
; COMPUTE_PGM_RSRC2:TGID_X_EN: 1
; COMPUTE_PGM_RSRC2:TGID_Y_EN: 0
; COMPUTE_PGM_RSRC2:TGID_Z_EN: 0
; COMPUTE_PGM_RSRC2:TIDIG_COMP_CNT: 0
	.type	__hip_cuid_aa3cfe0dcf9a3ac9,@object ; @__hip_cuid_aa3cfe0dcf9a3ac9
	.section	.bss,"aw",@nobits
	.globl	__hip_cuid_aa3cfe0dcf9a3ac9
__hip_cuid_aa3cfe0dcf9a3ac9:
	.byte	0                               ; 0x0
	.size	__hip_cuid_aa3cfe0dcf9a3ac9, 1

	.ident	"AMD clang version 19.0.0git (https://github.com/RadeonOpenCompute/llvm-project roc-6.4.0 25133 c7fe45cf4b819c5991fe208aaa96edf142730f1d)"
	.section	".note.GNU-stack","",@progbits
	.addrsig
	.addrsig_sym __hip_cuid_aa3cfe0dcf9a3ac9
	.amdgpu_metadata
---
amdhsa.kernels:
  - .args:
      - .actual_access:  read_only
        .address_space:  global
        .offset:         0
        .size:           8
        .value_kind:     global_buffer
      - .offset:         8
        .size:           8
        .value_kind:     by_value
      - .actual_access:  read_only
        .address_space:  global
        .offset:         16
        .size:           8
        .value_kind:     global_buffer
      - .actual_access:  read_only
        .address_space:  global
        .offset:         24
        .size:           8
        .value_kind:     global_buffer
      - .actual_access:  read_only
        .address_space:  global
        .offset:         32
        .size:           8
        .value_kind:     global_buffer
      - .offset:         40
        .size:           8
        .value_kind:     by_value
      - .actual_access:  read_only
        .address_space:  global
        .offset:         48
        .size:           8
        .value_kind:     global_buffer
      - .actual_access:  read_only
        .address_space:  global
        .offset:         56
        .size:           8
        .value_kind:     global_buffer
      - .offset:         64
        .size:           4
        .value_kind:     by_value
      - .actual_access:  read_only
        .address_space:  global
        .offset:         72
        .size:           8
        .value_kind:     global_buffer
      - .actual_access:  read_only
        .address_space:  global
        .offset:         80
        .size:           8
        .value_kind:     global_buffer
      - .actual_access:  read_only
        .address_space:  global
        .offset:         88
        .size:           8
        .value_kind:     global_buffer
      - .actual_access:  write_only
        .address_space:  global
        .offset:         96
        .size:           8
        .value_kind:     global_buffer
    .group_segment_fixed_size: 0
    .kernarg_segment_align: 8
    .kernarg_segment_size: 104
    .language:       OpenCL C
    .language_version:
      - 2
      - 0
    .max_flat_workgroup_size: 128
    .name:           fft_rtc_back_len64_factors_4_4_4_wgs_128_tpt_16_sp_op_CI_CI_sbrc_aligned
    .private_segment_fixed_size: 0
    .sgpr_count:     47
    .sgpr_spill_count: 0
    .symbol:         fft_rtc_back_len64_factors_4_4_4_wgs_128_tpt_16_sp_op_CI_CI_sbrc_aligned.kd
    .uniform_work_group_size: 1
    .uses_dynamic_stack: false
    .vgpr_count:     26
    .vgpr_spill_count: 0
    .wavefront_size: 64
amdhsa.target:   amdgcn-amd-amdhsa--gfx906
amdhsa.version:
  - 1
  - 2
...

	.end_amdgpu_metadata
